;; amdgpu-corpus repo=ROCm/rocFFT kind=compiled arch=gfx906 opt=O3
	.text
	.amdgcn_target "amdgcn-amd-amdhsa--gfx906"
	.amdhsa_code_object_version 6
	.protected	fft_rtc_fwd_len378_factors_6_3_3_7_wgs_126_tpt_126_dp_op_CI_CI_unitstride_sbrr_dirReg ; -- Begin function fft_rtc_fwd_len378_factors_6_3_3_7_wgs_126_tpt_126_dp_op_CI_CI_unitstride_sbrr_dirReg
	.globl	fft_rtc_fwd_len378_factors_6_3_3_7_wgs_126_tpt_126_dp_op_CI_CI_unitstride_sbrr_dirReg
	.p2align	8
	.type	fft_rtc_fwd_len378_factors_6_3_3_7_wgs_126_tpt_126_dp_op_CI_CI_unitstride_sbrr_dirReg,@function
fft_rtc_fwd_len378_factors_6_3_3_7_wgs_126_tpt_126_dp_op_CI_CI_unitstride_sbrr_dirReg: ; @fft_rtc_fwd_len378_factors_6_3_3_7_wgs_126_tpt_126_dp_op_CI_CI_unitstride_sbrr_dirReg
; %bb.0:
	s_load_dwordx4 s[8:11], s[4:5], 0x58
	s_load_dwordx4 s[12:15], s[4:5], 0x0
	;; [unrolled: 1-line block ×3, first 2 shown]
	v_mul_u32_u24_e32 v1, 0x209, v0
	v_add_u32_sdwa v6, s6, v1 dst_sel:DWORD dst_unused:UNUSED_PAD src0_sel:DWORD src1_sel:WORD_1
	v_mov_b32_e32 v1, 0
	s_waitcnt lgkmcnt(0)
	v_cmp_lt_u64_e64 s[0:1], s[14:15], 2
	v_mov_b32_e32 v4, 0
	v_mov_b32_e32 v7, v1
	s_and_b64 vcc, exec, s[0:1]
	v_mov_b32_e32 v5, 0
	s_cbranch_vccnz .LBB0_8
; %bb.1:
	s_load_dwordx2 s[0:1], s[4:5], 0x10
	s_add_u32 s2, s18, 8
	s_addc_u32 s3, s19, 0
	s_add_u32 s6, s16, 8
	v_mov_b32_e32 v4, 0
	s_addc_u32 s7, s17, 0
	v_mov_b32_e32 v5, 0
	s_waitcnt lgkmcnt(0)
	s_add_u32 s20, s0, 8
	v_mov_b32_e32 v29, v5
	s_addc_u32 s21, s1, 0
	s_mov_b64 s[22:23], 1
	v_mov_b32_e32 v28, v4
.LBB0_2:                                ; =>This Inner Loop Header: Depth=1
	s_load_dwordx2 s[24:25], s[20:21], 0x0
                                        ; implicit-def: $vgpr32_vgpr33
	s_waitcnt lgkmcnt(0)
	v_or_b32_e32 v2, s25, v7
	v_cmp_ne_u64_e32 vcc, 0, v[1:2]
	s_and_saveexec_b64 s[0:1], vcc
	s_xor_b64 s[26:27], exec, s[0:1]
	s_cbranch_execz .LBB0_4
; %bb.3:                                ;   in Loop: Header=BB0_2 Depth=1
	v_cvt_f32_u32_e32 v2, s24
	v_cvt_f32_u32_e32 v3, s25
	s_sub_u32 s0, 0, s24
	s_subb_u32 s1, 0, s25
	v_mac_f32_e32 v2, 0x4f800000, v3
	v_rcp_f32_e32 v2, v2
	v_mul_f32_e32 v2, 0x5f7ffffc, v2
	v_mul_f32_e32 v3, 0x2f800000, v2
	v_trunc_f32_e32 v3, v3
	v_mac_f32_e32 v2, 0xcf800000, v3
	v_cvt_u32_f32_e32 v3, v3
	v_cvt_u32_f32_e32 v2, v2
	v_mul_lo_u32 v8, s0, v3
	v_mul_hi_u32 v9, s0, v2
	v_mul_lo_u32 v11, s1, v2
	v_mul_lo_u32 v10, s0, v2
	v_add_u32_e32 v8, v9, v8
	v_add_u32_e32 v8, v8, v11
	v_mul_hi_u32 v9, v2, v10
	v_mul_lo_u32 v11, v2, v8
	v_mul_hi_u32 v13, v2, v8
	v_mul_hi_u32 v12, v3, v10
	v_mul_lo_u32 v10, v3, v10
	v_mul_hi_u32 v14, v3, v8
	v_add_co_u32_e32 v9, vcc, v9, v11
	v_addc_co_u32_e32 v11, vcc, 0, v13, vcc
	v_mul_lo_u32 v8, v3, v8
	v_add_co_u32_e32 v9, vcc, v9, v10
	v_addc_co_u32_e32 v9, vcc, v11, v12, vcc
	v_addc_co_u32_e32 v10, vcc, 0, v14, vcc
	v_add_co_u32_e32 v8, vcc, v9, v8
	v_addc_co_u32_e32 v9, vcc, 0, v10, vcc
	v_add_co_u32_e32 v2, vcc, v2, v8
	v_addc_co_u32_e32 v3, vcc, v3, v9, vcc
	v_mul_lo_u32 v8, s0, v3
	v_mul_hi_u32 v9, s0, v2
	v_mul_lo_u32 v10, s1, v2
	v_mul_lo_u32 v11, s0, v2
	v_add_u32_e32 v8, v9, v8
	v_add_u32_e32 v8, v8, v10
	v_mul_lo_u32 v12, v2, v8
	v_mul_hi_u32 v13, v2, v11
	v_mul_hi_u32 v14, v2, v8
	v_mul_hi_u32 v10, v3, v11
	v_mul_lo_u32 v11, v3, v11
	v_mul_hi_u32 v9, v3, v8
	v_add_co_u32_e32 v12, vcc, v13, v12
	v_addc_co_u32_e32 v13, vcc, 0, v14, vcc
	v_mul_lo_u32 v8, v3, v8
	v_add_co_u32_e32 v11, vcc, v12, v11
	v_addc_co_u32_e32 v10, vcc, v13, v10, vcc
	v_addc_co_u32_e32 v9, vcc, 0, v9, vcc
	v_add_co_u32_e32 v8, vcc, v10, v8
	v_addc_co_u32_e32 v9, vcc, 0, v9, vcc
	v_add_co_u32_e32 v8, vcc, v2, v8
	v_addc_co_u32_e32 v9, vcc, v3, v9, vcc
	v_mad_u64_u32 v[2:3], s[0:1], v6, v9, 0
	v_mul_hi_u32 v10, v6, v8
	v_add_co_u32_e32 v10, vcc, v10, v2
	v_addc_co_u32_e32 v11, vcc, 0, v3, vcc
	v_mad_u64_u32 v[2:3], s[0:1], v7, v8, 0
	v_mad_u64_u32 v[8:9], s[0:1], v7, v9, 0
	v_add_co_u32_e32 v2, vcc, v10, v2
	v_addc_co_u32_e32 v2, vcc, v11, v3, vcc
	v_addc_co_u32_e32 v3, vcc, 0, v9, vcc
	v_add_co_u32_e32 v8, vcc, v2, v8
	v_addc_co_u32_e32 v9, vcc, 0, v3, vcc
	v_mul_lo_u32 v10, s25, v8
	v_mul_lo_u32 v11, s24, v9
	v_mad_u64_u32 v[2:3], s[0:1], s24, v8, 0
	v_add3_u32 v3, v3, v11, v10
	v_sub_u32_e32 v10, v7, v3
	v_mov_b32_e32 v11, s25
	v_sub_co_u32_e32 v2, vcc, v6, v2
	v_subb_co_u32_e64 v10, s[0:1], v10, v11, vcc
	v_subrev_co_u32_e64 v11, s[0:1], s24, v2
	v_subbrev_co_u32_e64 v10, s[0:1], 0, v10, s[0:1]
	v_cmp_le_u32_e64 s[0:1], s25, v10
	v_cndmask_b32_e64 v12, 0, -1, s[0:1]
	v_cmp_le_u32_e64 s[0:1], s24, v11
	v_cndmask_b32_e64 v11, 0, -1, s[0:1]
	v_cmp_eq_u32_e64 s[0:1], s25, v10
	v_cndmask_b32_e64 v10, v12, v11, s[0:1]
	v_add_co_u32_e64 v11, s[0:1], 2, v8
	v_addc_co_u32_e64 v12, s[0:1], 0, v9, s[0:1]
	v_add_co_u32_e64 v13, s[0:1], 1, v8
	v_addc_co_u32_e64 v14, s[0:1], 0, v9, s[0:1]
	v_subb_co_u32_e32 v3, vcc, v7, v3, vcc
	v_cmp_ne_u32_e64 s[0:1], 0, v10
	v_cmp_le_u32_e32 vcc, s25, v3
	v_cndmask_b32_e64 v10, v14, v12, s[0:1]
	v_cndmask_b32_e64 v12, 0, -1, vcc
	v_cmp_le_u32_e32 vcc, s24, v2
	v_cndmask_b32_e64 v2, 0, -1, vcc
	v_cmp_eq_u32_e32 vcc, s25, v3
	v_cndmask_b32_e32 v2, v12, v2, vcc
	v_cmp_ne_u32_e32 vcc, 0, v2
	v_cndmask_b32_e64 v2, v13, v11, s[0:1]
	v_cndmask_b32_e32 v33, v9, v10, vcc
	v_cndmask_b32_e32 v32, v8, v2, vcc
.LBB0_4:                                ;   in Loop: Header=BB0_2 Depth=1
	s_andn2_saveexec_b64 s[0:1], s[26:27]
	s_cbranch_execz .LBB0_6
; %bb.5:                                ;   in Loop: Header=BB0_2 Depth=1
	v_cvt_f32_u32_e32 v2, s24
	s_sub_i32 s26, 0, s24
	v_mov_b32_e32 v33, v1
	v_rcp_iflag_f32_e32 v2, v2
	v_mul_f32_e32 v2, 0x4f7ffffe, v2
	v_cvt_u32_f32_e32 v2, v2
	v_mul_lo_u32 v3, s26, v2
	v_mul_hi_u32 v3, v2, v3
	v_add_u32_e32 v2, v2, v3
	v_mul_hi_u32 v2, v6, v2
	v_mul_lo_u32 v3, v2, s24
	v_add_u32_e32 v8, 1, v2
	v_sub_u32_e32 v3, v6, v3
	v_subrev_u32_e32 v9, s24, v3
	v_cmp_le_u32_e32 vcc, s24, v3
	v_cndmask_b32_e32 v3, v3, v9, vcc
	v_cndmask_b32_e32 v2, v2, v8, vcc
	v_add_u32_e32 v8, 1, v2
	v_cmp_le_u32_e32 vcc, s24, v3
	v_cndmask_b32_e32 v32, v2, v8, vcc
.LBB0_6:                                ;   in Loop: Header=BB0_2 Depth=1
	s_or_b64 exec, exec, s[0:1]
	v_mul_lo_u32 v8, v33, s24
	v_mul_lo_u32 v9, v32, s25
	v_mad_u64_u32 v[2:3], s[0:1], v32, s24, 0
	s_load_dwordx2 s[0:1], s[6:7], 0x0
	s_load_dwordx2 s[24:25], s[2:3], 0x0
	v_add3_u32 v3, v3, v9, v8
	v_sub_co_u32_e32 v2, vcc, v6, v2
	v_subb_co_u32_e32 v3, vcc, v7, v3, vcc
	s_waitcnt lgkmcnt(0)
	v_mul_lo_u32 v6, s0, v3
	v_mul_lo_u32 v7, s1, v2
	v_mad_u64_u32 v[4:5], s[0:1], s0, v2, v[4:5]
	v_mul_lo_u32 v3, s24, v3
	v_mul_lo_u32 v8, s25, v2
	v_mad_u64_u32 v[28:29], s[0:1], s24, v2, v[28:29]
	s_add_u32 s22, s22, 1
	s_addc_u32 s23, s23, 0
	s_add_u32 s2, s2, 8
	v_add3_u32 v29, v8, v29, v3
	s_addc_u32 s3, s3, 0
	v_mov_b32_e32 v2, s14
	s_add_u32 s6, s6, 8
	v_mov_b32_e32 v3, s15
	s_addc_u32 s7, s7, 0
	v_cmp_ge_u64_e32 vcc, s[22:23], v[2:3]
	s_add_u32 s20, s20, 8
	v_add3_u32 v5, v7, v5, v6
	s_addc_u32 s21, s21, 0
	s_cbranch_vccnz .LBB0_9
; %bb.7:                                ;   in Loop: Header=BB0_2 Depth=1
	v_mov_b32_e32 v6, v32
	v_mov_b32_e32 v7, v33
	s_branch .LBB0_2
.LBB0_8:
	v_mov_b32_e32 v29, v5
	v_mov_b32_e32 v33, v7
	;; [unrolled: 1-line block ×4, first 2 shown]
.LBB0_9:
	s_mov_b32 s2, 0x2082083
	s_load_dwordx2 s[0:1], s[4:5], 0x28
	v_mul_hi_u32 v1, v0, s2
	s_lshl_b64 s[6:7], s[14:15], 3
	s_add_u32 s14, s18, s6
	s_addc_u32 s15, s19, s7
	v_mul_u32_u24_e32 v1, 0x7e, v1
	s_waitcnt lgkmcnt(0)
	v_cmp_gt_u64_e64 s[0:1], s[0:1], v[32:33]
	v_sub_u32_e32 v30, v0, v1
	v_cmp_gt_u32_e64 s[2:3], 63, v30
	s_and_b64 s[18:19], s[0:1], s[2:3]
                                        ; implicit-def: $vgpr18_vgpr19
                                        ; implicit-def: $vgpr22_vgpr23
                                        ; implicit-def: $vgpr10_vgpr11
                                        ; implicit-def: $vgpr14_vgpr15
                                        ; implicit-def: $vgpr6_vgpr7
                                        ; implicit-def: $vgpr2_vgpr3
	s_and_saveexec_b64 s[4:5], s[18:19]
	s_cbranch_execz .LBB0_11
; %bb.10:
	s_add_u32 s6, s16, s6
	s_addc_u32 s7, s17, s7
	s_load_dwordx2 s[6:7], s[6:7], 0x0
	v_mov_b32_e32 v6, s9
	v_mov_b32_e32 v31, 0
	s_waitcnt lgkmcnt(0)
	v_mul_lo_u32 v2, s7, v32
	v_mul_lo_u32 v3, s6, v33
	v_mad_u64_u32 v[0:1], s[6:7], s6, v32, 0
	v_add3_u32 v1, v1, v3, v2
	v_lshlrev_b64 v[0:1], 4, v[0:1]
	v_add_co_u32_e32 v2, vcc, s8, v0
	v_addc_co_u32_e32 v3, vcc, v6, v1, vcc
	v_lshlrev_b64 v[0:1], 4, v[4:5]
	v_add_co_u32_e32 v2, vcc, v2, v0
	v_addc_co_u32_e32 v3, vcc, v3, v1, vcc
	;; [unrolled: 3-line block ×3, first 2 shown]
	global_load_dwordx4 v[0:3], v[24:25], off
	global_load_dwordx4 v[4:7], v[24:25], off offset:1008
	global_load_dwordx4 v[12:15], v[24:25], off offset:2016
	global_load_dwordx4 v[8:11], v[24:25], off offset:3024
	v_add_co_u32_e32 v26, vcc, 0x1000, v24
	v_addc_co_u32_e32 v27, vcc, 0, v25, vcc
	global_load_dwordx4 v[20:23], v[24:25], off offset:4032
	global_load_dwordx4 v[16:19], v[26:27], off offset:944
.LBB0_11:
	s_or_b64 exec, exec, s[4:5]
	s_waitcnt vmcnt(3)
	v_add_f64 v[24:25], v[12:13], v[0:1]
	v_add_f64 v[26:27], v[14:15], v[2:3]
	s_waitcnt vmcnt(0)
	v_add_f64 v[36:37], v[16:17], v[8:9]
	v_add_f64 v[40:41], v[18:19], v[10:11]
	;; [unrolled: 1-line block ×4, first 2 shown]
	v_add_f64 v[42:43], v[14:15], -v[22:23]
	v_add_f64 v[44:45], v[12:13], -v[20:21]
	v_add_f64 v[12:13], v[20:21], v[24:25]
	v_add_f64 v[14:15], v[22:23], v[26:27]
	v_fma_f64 v[20:21], v[36:37], -0.5, v[4:5]
	v_add_f64 v[22:23], v[10:11], -v[18:19]
	v_fma_f64 v[24:25], v[40:41], -0.5, v[6:7]
	v_add_f64 v[4:5], v[8:9], v[4:5]
	v_add_f64 v[8:9], v[8:9], -v[16:17]
	s_mov_b32 s4, 0xe8584caa
	s_mov_b32 s5, 0x3febb67a
	;; [unrolled: 1-line block ×4, first 2 shown]
	v_add_f64 v[6:7], v[10:11], v[6:7]
	v_fma_f64 v[10:11], v[22:23], s[4:5], v[20:21]
	v_fma_f64 v[40:41], v[22:23], s[6:7], v[20:21]
	;; [unrolled: 1-line block ×3, first 2 shown]
	v_fma_f64 v[0:1], v[34:35], -0.5, v[0:1]
	v_fma_f64 v[2:3], v[38:39], -0.5, v[2:3]
	v_add_f64 v[16:17], v[16:17], v[4:5]
	v_fma_f64 v[4:5], v[8:9], s[6:7], v[24:25]
	v_add_f64 v[18:19], v[18:19], v[6:7]
	v_mul_f64 v[6:7], v[10:11], 0.5
	v_mul_f64 v[8:9], v[10:11], s[6:7]
	v_mul_f64 v[10:11], v[40:41], -0.5
	v_mul_f64 v[46:47], v[26:27], -0.5
	v_fma_f64 v[20:21], v[42:43], s[4:5], v[0:1]
	v_fma_f64 v[22:23], v[42:43], s[6:7], v[0:1]
	;; [unrolled: 1-line block ×5, first 2 shown]
	v_fma_f64 v[36:37], v[4:5], 0.5, v[8:9]
	v_fma_f64 v[26:27], v[26:27], s[4:5], v[10:11]
	v_fma_f64 v[40:41], v[40:41], s[6:7], v[46:47]
	v_add_f64 v[4:5], v[12:13], -v[16:17]
	v_add_f64 v[6:7], v[14:15], -v[18:19]
	;; [unrolled: 1-line block ×6, first 2 shown]
	s_and_saveexec_b64 s[8:9], s[2:3]
	s_cbranch_execz .LBB0_13
; %bb.12:
	v_add_f64 v[14:15], v[18:19], v[14:15]
	v_add_f64 v[12:13], v[16:17], v[12:13]
	;; [unrolled: 1-line block ×6, first 2 shown]
	v_mul_u32_u24_e32 v16, 6, v30
	v_lshl_add_u32 v16, v16, 4, 0
	ds_write_b128 v16, v[12:15]
	ds_write_b128 v16, v[40:43] offset:16
	ds_write_b128 v16, v[36:39] offset:32
	;; [unrolled: 1-line block ×5, first 2 shown]
.LBB0_13:
	s_or_b64 exec, exec, s[8:9]
	s_movk_i32 s8, 0xab
	v_mul_lo_u16_sdwa v12, v30, s8 dst_sel:DWORD dst_unused:UNUSED_PAD src0_sel:BYTE_0 src1_sel:DWORD
	v_lshrrev_b16_e32 v27, 10, v12
	v_mul_lo_u16_e32 v12, 6, v27
	v_sub_u16_e32 v31, v30, v12
	v_mov_b32_e32 v42, 5
	v_lshlrev_b32_sdwa v16, v42, v31 dst_sel:DWORD dst_unused:UNUSED_PAD src0_sel:DWORD src1_sel:BYTE_0
	s_load_dwordx2 s[2:3], s[14:15], 0x0
	s_waitcnt lgkmcnt(0)
	s_barrier
	global_load_dwordx4 v[12:15], v16, s[12:13]
	global_load_dwordx4 v[17:20], v16, s[12:13] offset:16
	v_lshl_add_u32 v16, v30, 4, 0
	ds_read_b128 v[21:24], v16 offset:2016
	ds_read_b128 v[34:37], v16 offset:4032
	v_mov_b32_e32 v44, 4
	v_mul_u32_u24_e32 v27, 0x120, v27
	v_lshlrev_b32_sdwa v31, v44, v31 dst_sel:DWORD dst_unused:UNUSED_PAD src0_sel:DWORD src1_sel:BYTE_0
	v_cmp_gt_u32_e32 vcc, 54, v30
	s_waitcnt vmcnt(1) lgkmcnt(1)
	v_mul_f64 v[25:26], v[23:24], v[14:15]
	s_waitcnt vmcnt(0) lgkmcnt(0)
	v_mul_f64 v[38:39], v[36:37], v[19:20]
	v_mul_f64 v[14:15], v[21:22], v[14:15]
	;; [unrolled: 1-line block ×3, first 2 shown]
	v_fma_f64 v[21:22], v[21:22], v[12:13], -v[25:26]
	v_fma_f64 v[25:26], v[34:35], v[17:18], -v[38:39]
	v_fma_f64 v[23:24], v[23:24], v[12:13], v[14:15]
	v_fma_f64 v[17:18], v[36:37], v[17:18], v[19:20]
	v_mov_b32_e32 v34, 57
	v_mul_lo_u16_sdwa v36, v30, v34 dst_sel:DWORD dst_unused:UNUSED_PAD src0_sel:BYTE_0 src1_sel:DWORD
	ds_read_b128 v[12:15], v16
	v_lshrrev_b16_e32 v45, 10, v36
	s_waitcnt lgkmcnt(0)
	v_add_f64 v[19:20], v[21:22], v[25:26]
	v_add_f64 v[40:41], v[21:22], -v[25:26]
	v_add_f64 v[34:35], v[23:24], v[17:18]
	v_add_f64 v[36:37], v[12:13], v[21:22]
	v_add_f64 v[38:39], v[23:24], -v[17:18]
	v_add_f64 v[23:24], v[14:15], v[23:24]
	s_barrier
	v_fma_f64 v[19:20], v[19:20], -0.5, v[12:13]
	v_mul_lo_u16_e32 v12, 18, v45
	v_fma_f64 v[34:35], v[34:35], -0.5, v[14:15]
	v_sub_u16_e32 v46, v30, v12
	v_add_f64 v[12:13], v[36:37], v[25:26]
	v_add_f64 v[14:15], v[23:24], v[17:18]
	v_lshlrev_b32_sdwa v25, v42, v46 dst_sel:DWORD dst_unused:UNUSED_PAD src0_sel:DWORD src1_sel:BYTE_0
	v_add3_u32 v26, 0, v27, v31
	v_fma_f64 v[17:18], v[38:39], s[4:5], v[19:20]
	v_fma_f64 v[21:22], v[38:39], s[6:7], v[19:20]
	;; [unrolled: 1-line block ×4, first 2 shown]
	ds_write_b128 v26, v[12:15]
	ds_write_b128 v26, v[17:20] offset:96
	ds_write_b128 v26, v[21:24] offset:192
	s_waitcnt lgkmcnt(0)
	s_barrier
	global_load_dwordx4 v[12:15], v25, s[12:13] offset:192
	global_load_dwordx4 v[17:20], v25, s[12:13] offset:208
	ds_read_b128 v[21:24], v16 offset:2016
	ds_read_b128 v[34:37], v16 offset:4032
	s_waitcnt vmcnt(1) lgkmcnt(1)
	v_mul_f64 v[25:26], v[23:24], v[14:15]
	s_waitcnt vmcnt(0) lgkmcnt(0)
	v_mul_f64 v[38:39], v[36:37], v[19:20]
	v_mul_f64 v[14:15], v[21:22], v[14:15]
	;; [unrolled: 1-line block ×3, first 2 shown]
	v_fma_f64 v[21:22], v[21:22], v[12:13], -v[25:26]
	v_fma_f64 v[25:26], v[34:35], v[17:18], -v[38:39]
	v_fma_f64 v[23:24], v[23:24], v[12:13], v[14:15]
	v_fma_f64 v[17:18], v[36:37], v[17:18], v[19:20]
	ds_read_b128 v[12:15], v16
	s_waitcnt lgkmcnt(0)
	s_barrier
	v_add_f64 v[19:20], v[21:22], v[25:26]
	v_add_f64 v[36:37], v[12:13], v[21:22]
	;; [unrolled: 1-line block ×3, first 2 shown]
	v_add_f64 v[38:39], v[23:24], -v[17:18]
	v_add_f64 v[23:24], v[14:15], v[23:24]
	v_add_f64 v[42:43], v[21:22], -v[25:26]
	v_fma_f64 v[40:41], v[19:20], -0.5, v[12:13]
	v_add_f64 v[12:13], v[36:37], v[25:26]
	v_fma_f64 v[34:35], v[34:35], -0.5, v[14:15]
	v_mul_u32_u24_e32 v19, 0x360, v45
	v_add_f64 v[14:15], v[23:24], v[17:18]
	v_lshlrev_b32_sdwa v17, v44, v46 dst_sel:DWORD dst_unused:UNUSED_PAD src0_sel:DWORD src1_sel:BYTE_0
	v_add3_u32 v17, 0, v19, v17
                                        ; implicit-def: $vgpr18_vgpr19
	v_fma_f64 v[20:21], v[38:39], s[4:5], v[40:41]
	v_fma_f64 v[24:25], v[38:39], s[6:7], v[40:41]
	;; [unrolled: 1-line block ×4, first 2 shown]
	ds_write_b128 v17, v[12:15]
	ds_write_b128 v17, v[20:23] offset:288
	ds_write_b128 v17, v[24:27] offset:576
	s_waitcnt lgkmcnt(0)
	s_barrier
	s_and_saveexec_b64 s[4:5], vcc
	s_cbranch_execnz .LBB0_16
; %bb.14:
	s_or_b64 exec, exec, s[4:5]
	s_and_b64 s[0:1], s[0:1], vcc
	s_and_saveexec_b64 s[4:5], s[0:1]
	s_cbranch_execnz .LBB0_17
.LBB0_15:
	s_endpgm
.LBB0_16:
	ds_read_b128 v[12:15], v16
	ds_read_b128 v[20:23], v16 offset:864
	ds_read_b128 v[24:27], v16 offset:1728
	;; [unrolled: 1-line block ×6, first 2 shown]
	s_or_b64 exec, exec, s[4:5]
	s_and_b64 s[0:1], s[0:1], vcc
	s_and_saveexec_b64 s[4:5], s[0:1]
	s_cbranch_execz .LBB0_15
.LBB0_17:
	v_mov_b32_e32 v31, 19
	v_mul_lo_u16_sdwa v31, v30, v31 dst_sel:DWORD dst_unused:UNUSED_PAD src0_sel:BYTE_0 src1_sel:DWORD
	v_lshrrev_b16_e32 v31, 10, v31
	v_mul_lo_u16_e32 v31, 54, v31
	v_sub_u16_e32 v31, v30, v31
	v_mov_b32_e32 v35, s13
	v_and_b32_e32 v31, 0xff, v31
	s_movk_i32 s0, 0x60
	v_mov_b32_e32 v34, s12
	v_mad_u64_u32 v[42:43], s[0:1], v31, s0, v[34:35]
	global_load_dwordx4 v[34:37], v[42:43], off offset:800
	global_load_dwordx4 v[38:41], v[42:43], off offset:816
	v_mov_b32_e32 v31, 0
	s_mov_b32 s8, 0xe976ee23
	s_mov_b32 s9, 0xbfe11646
	;; [unrolled: 1-line block ×12, first 2 shown]
	s_waitcnt vmcnt(1) lgkmcnt(3)
	v_mul_f64 v[44:45], v[6:7], v[36:37]
	v_fma_f64 v[44:45], v[4:5], v[34:35], -v[44:45]
	v_mul_f64 v[4:5], v[4:5], v[36:37]
	v_fma_f64 v[34:35], v[6:7], v[34:35], v[4:5]
	s_waitcnt vmcnt(0) lgkmcnt(2)
	v_mul_f64 v[4:5], v[10:11], v[40:41]
	v_mul_f64 v[6:7], v[8:9], v[40:41]
	v_fma_f64 v[36:37], v[8:9], v[38:39], -v[4:5]
	v_fma_f64 v[38:39], v[10:11], v[38:39], v[6:7]
	global_load_dwordx4 v[4:7], v[42:43], off offset:784
	global_load_dwordx4 v[8:11], v[42:43], off offset:768
	s_waitcnt vmcnt(1)
	v_mul_f64 v[40:41], v[26:27], v[6:7]
	v_mul_f64 v[6:7], v[24:25], v[6:7]
	v_fma_f64 v[40:41], v[24:25], v[4:5], -v[40:41]
	v_fma_f64 v[46:47], v[26:27], v[4:5], v[6:7]
	global_load_dwordx4 v[4:7], v[42:43], off offset:832
	global_load_dwordx4 v[24:27], v[42:43], off offset:848
	s_waitcnt vmcnt(1) lgkmcnt(1)
	v_mul_f64 v[42:43], v[2:3], v[6:7]
	v_fma_f64 v[42:43], v[0:1], v[4:5], -v[42:43]
	v_mul_f64 v[0:1], v[0:1], v[6:7]
	v_mad_u64_u32 v[6:7], s[0:1], s2, v32, 0
	s_mov_b32 s0, 0x37c3f68c
	s_mov_b32 s1, 0x3fdc38aa
	v_fma_f64 v[0:1], v[2:3], v[4:5], v[0:1]
	v_mul_f64 v[2:3], v[22:23], v[10:11]
	v_mul_f64 v[4:5], v[20:21], v[10:11]
	v_lshlrev_b64 v[10:11], 4, v[30:31]
	v_add_f64 v[30:31], v[40:41], v[42:43]
	v_fma_f64 v[2:3], v[20:21], v[8:9], -v[2:3]
	v_mul_lo_u32 v20, s3, v32
	v_mul_lo_u32 v21, s2, v33
	v_fma_f64 v[4:5], v[22:23], v[8:9], v[4:5]
	s_waitcnt vmcnt(0) lgkmcnt(0)
	v_mul_f64 v[22:23], v[16:17], v[26:27]
	v_mov_b32_e32 v32, s11
	v_add3_u32 v7, v7, v21, v20
	v_mul_f64 v[20:21], v[18:19], v[26:27]
	v_lshlrev_b64 v[6:7], 4, v[6:7]
	v_lshlrev_b64 v[8:9], 4, v[28:29]
	v_add_co_u32_e32 v6, vcc, s10, v6
	v_addc_co_u32_e32 v7, vcc, v32, v7, vcc
	v_add_co_u32_e32 v26, vcc, v6, v8
	v_addc_co_u32_e32 v27, vcc, v7, v9, vcc
	v_fma_f64 v[6:7], v[16:17], v[24:25], -v[20:21]
	v_fma_f64 v[8:9], v[18:19], v[24:25], v[22:23]
	v_add_co_u32_e32 v24, vcc, v26, v10
	v_addc_co_u32_e32 v25, vcc, v27, v11, vcc
	v_add_f64 v[22:23], v[46:47], v[0:1]
	v_add_f64 v[10:11], v[36:37], -v[44:45]
	v_add_f64 v[18:19], v[2:3], -v[6:7]
	v_add_f64 v[26:27], v[4:5], v[8:9]
	v_add_f64 v[2:3], v[2:3], v[6:7]
	v_add_f64 v[16:17], v[40:41], -v[42:43]
	v_add_f64 v[20:21], v[38:39], v[34:35]
	v_add_f64 v[28:29], v[36:37], v[44:45]
	v_add_f64 v[6:7], v[38:39], -v[34:35]
	v_add_f64 v[0:1], v[46:47], -v[0:1]
	;; [unrolled: 1-line block ×3, first 2 shown]
	v_add_f64 v[34:35], v[22:23], v[26:27]
	v_add_f64 v[36:37], v[30:31], v[2:3]
	;; [unrolled: 1-line block ×3, first 2 shown]
	v_add_f64 v[32:33], v[10:11], -v[16:17]
	v_add_f64 v[38:39], v[20:21], -v[22:23]
	;; [unrolled: 1-line block ×6, first 2 shown]
	v_add_f64 v[20:21], v[20:21], v[34:35]
	v_add_f64 v[28:29], v[28:29], v[36:37]
	v_add_f64 v[36:37], v[6:7], -v[0:1]
	v_add_f64 v[16:17], v[16:17], -v[18:19]
	;; [unrolled: 1-line block ×3, first 2 shown]
	v_add_f64 v[34:35], v[6:7], v[0:1]
	v_add_f64 v[6:7], v[4:5], -v[6:7]
	v_add_f64 v[30:31], v[30:31], -v[2:3]
	;; [unrolled: 1-line block ×3, first 2 shown]
	v_add_f64 v[8:9], v[8:9], v[18:19]
	v_mul_f64 v[18:19], v[32:33], s[8:9]
	v_add_f64 v[2:3], v[14:15], v[20:21]
	v_mul_f64 v[14:15], v[36:37], s[8:9]
	v_mul_f64 v[36:37], v[16:17], s[16:17]
	;; [unrolled: 1-line block ×4, first 2 shown]
	s_mov_b32 s3, 0x3fd5d0dc
	s_mov_b32 s2, 0xb247c609
	v_add_f64 v[0:1], v[12:13], v[28:29]
	v_mul_f64 v[12:13], v[38:39], s[4:5]
	v_add_f64 v[4:5], v[34:35], v[4:5]
	v_mul_f64 v[34:35], v[44:45], s[16:17]
	v_fma_f64 v[16:17], v[16:17], s[16:17], -v[18:19]
	v_fma_f64 v[18:19], v[10:11], s[2:3], v[18:19]
	v_fma_f64 v[40:41], v[44:45], s[16:17], -v[14:15]
	v_fma_f64 v[14:15], v[6:7], s[2:3], v[14:15]
	s_mov_b32 s3, 0xbfd5d0dc
	v_fma_f64 v[10:11], v[10:11], s[2:3], -v[36:37]
	v_mul_f64 v[36:37], v[42:43], s[4:5]
	v_fma_f64 v[38:39], v[38:39], s[4:5], v[32:33]
	v_fma_f64 v[42:43], v[42:43], s[4:5], v[26:27]
	v_fma_f64 v[32:33], v[22:23], s[14:15], -v[32:33]
	v_fma_f64 v[26:27], v[30:31], s[14:15], -v[26:27]
	s_mov_b32 s15, 0x3fe77f67
	v_fma_f64 v[12:13], v[22:23], s[14:15], -v[12:13]
	v_fma_f64 v[20:21], v[20:21], s[6:7], v[2:3]
	v_fma_f64 v[28:29], v[28:29], s[6:7], v[0:1]
	v_fma_f64 v[6:7], v[6:7], s[2:3], -v[34:35]
	v_fma_f64 v[22:23], v[30:31], s[14:15], -v[36:37]
	v_fma_f64 v[18:19], v[8:9], s[0:1], v[18:19]
	v_fma_f64 v[30:31], v[4:5], s[0:1], v[14:15]
	;; [unrolled: 1-line block ×4, first 2 shown]
	v_add_f64 v[8:9], v[12:13], v[20:21]
	v_add_f64 v[32:33], v[32:33], v[20:21]
	;; [unrolled: 1-line block ×4, first 2 shown]
	v_fma_f64 v[36:37], v[4:5], s[0:1], v[6:7]
	v_add_f64 v[26:27], v[26:27], v[28:29]
	v_fma_f64 v[16:17], v[4:5], s[0:1], v[40:41]
	v_add_f64 v[22:23], v[22:23], v[28:29]
	global_store_dwordx4 v[24:25], v[0:3], off
	v_add_f64 v[6:7], v[14:15], v[8:9]
	v_add_f64 v[2:3], v[8:9], -v[14:15]
	v_add_f64 v[14:15], v[20:21], -v[18:19]
	v_add_f64 v[12:13], v[30:31], v[38:39]
	v_add_f64 v[10:11], v[32:33], -v[34:35]
	v_add_f64 v[8:9], v[36:37], v[26:27]
	;; [unrolled: 2-line block ×3, first 2 shown]
	v_add_f64 v[18:19], v[18:19], v[20:21]
	v_add_f64 v[22:23], v[34:35], v[32:33]
	v_add_f64 v[20:21], v[26:27], -v[36:37]
	v_add_f64 v[16:17], v[38:39], -v[30:31]
	global_store_dwordx4 v[24:25], v[12:15], off offset:864
	global_store_dwordx4 v[24:25], v[8:11], off offset:1728
	;; [unrolled: 1-line block ×4, first 2 shown]
	s_nop 0
	v_add_co_u32_e32 v0, vcc, 0x1000, v24
	v_addc_co_u32_e32 v1, vcc, 0, v25, vcc
	global_store_dwordx4 v[0:1], v[20:23], off offset:224
	global_store_dwordx4 v[0:1], v[16:19], off offset:1088
	s_endpgm
	.section	.rodata,"a",@progbits
	.p2align	6, 0x0
	.amdhsa_kernel fft_rtc_fwd_len378_factors_6_3_3_7_wgs_126_tpt_126_dp_op_CI_CI_unitstride_sbrr_dirReg
		.amdhsa_group_segment_fixed_size 0
		.amdhsa_private_segment_fixed_size 0
		.amdhsa_kernarg_size 104
		.amdhsa_user_sgpr_count 6
		.amdhsa_user_sgpr_private_segment_buffer 1
		.amdhsa_user_sgpr_dispatch_ptr 0
		.amdhsa_user_sgpr_queue_ptr 0
		.amdhsa_user_sgpr_kernarg_segment_ptr 1
		.amdhsa_user_sgpr_dispatch_id 0
		.amdhsa_user_sgpr_flat_scratch_init 0
		.amdhsa_user_sgpr_private_segment_size 0
		.amdhsa_uses_dynamic_stack 0
		.amdhsa_system_sgpr_private_segment_wavefront_offset 0
		.amdhsa_system_sgpr_workgroup_id_x 1
		.amdhsa_system_sgpr_workgroup_id_y 0
		.amdhsa_system_sgpr_workgroup_id_z 0
		.amdhsa_system_sgpr_workgroup_info 0
		.amdhsa_system_vgpr_workitem_id 0
		.amdhsa_next_free_vgpr 48
		.amdhsa_next_free_sgpr 28
		.amdhsa_reserve_vcc 1
		.amdhsa_reserve_flat_scratch 0
		.amdhsa_float_round_mode_32 0
		.amdhsa_float_round_mode_16_64 0
		.amdhsa_float_denorm_mode_32 3
		.amdhsa_float_denorm_mode_16_64 3
		.amdhsa_dx10_clamp 1
		.amdhsa_ieee_mode 1
		.amdhsa_fp16_overflow 0
		.amdhsa_exception_fp_ieee_invalid_op 0
		.amdhsa_exception_fp_denorm_src 0
		.amdhsa_exception_fp_ieee_div_zero 0
		.amdhsa_exception_fp_ieee_overflow 0
		.amdhsa_exception_fp_ieee_underflow 0
		.amdhsa_exception_fp_ieee_inexact 0
		.amdhsa_exception_int_div_zero 0
	.end_amdhsa_kernel
	.text
.Lfunc_end0:
	.size	fft_rtc_fwd_len378_factors_6_3_3_7_wgs_126_tpt_126_dp_op_CI_CI_unitstride_sbrr_dirReg, .Lfunc_end0-fft_rtc_fwd_len378_factors_6_3_3_7_wgs_126_tpt_126_dp_op_CI_CI_unitstride_sbrr_dirReg
                                        ; -- End function
	.section	.AMDGPU.csdata,"",@progbits
; Kernel info:
; codeLenInByte = 3864
; NumSgprs: 32
; NumVgprs: 48
; ScratchSize: 0
; MemoryBound: 1
; FloatMode: 240
; IeeeMode: 1
; LDSByteSize: 0 bytes/workgroup (compile time only)
; SGPRBlocks: 3
; VGPRBlocks: 11
; NumSGPRsForWavesPerEU: 32
; NumVGPRsForWavesPerEU: 48
; Occupancy: 5
; WaveLimiterHint : 1
; COMPUTE_PGM_RSRC2:SCRATCH_EN: 0
; COMPUTE_PGM_RSRC2:USER_SGPR: 6
; COMPUTE_PGM_RSRC2:TRAP_HANDLER: 0
; COMPUTE_PGM_RSRC2:TGID_X_EN: 1
; COMPUTE_PGM_RSRC2:TGID_Y_EN: 0
; COMPUTE_PGM_RSRC2:TGID_Z_EN: 0
; COMPUTE_PGM_RSRC2:TIDIG_COMP_CNT: 0
	.type	__hip_cuid_521740f18c5833aa,@object ; @__hip_cuid_521740f18c5833aa
	.section	.bss,"aw",@nobits
	.globl	__hip_cuid_521740f18c5833aa
__hip_cuid_521740f18c5833aa:
	.byte	0                               ; 0x0
	.size	__hip_cuid_521740f18c5833aa, 1

	.ident	"AMD clang version 19.0.0git (https://github.com/RadeonOpenCompute/llvm-project roc-6.4.0 25133 c7fe45cf4b819c5991fe208aaa96edf142730f1d)"
	.section	".note.GNU-stack","",@progbits
	.addrsig
	.addrsig_sym __hip_cuid_521740f18c5833aa
	.amdgpu_metadata
---
amdhsa.kernels:
  - .args:
      - .actual_access:  read_only
        .address_space:  global
        .offset:         0
        .size:           8
        .value_kind:     global_buffer
      - .offset:         8
        .size:           8
        .value_kind:     by_value
      - .actual_access:  read_only
        .address_space:  global
        .offset:         16
        .size:           8
        .value_kind:     global_buffer
      - .actual_access:  read_only
        .address_space:  global
        .offset:         24
        .size:           8
        .value_kind:     global_buffer
      - .actual_access:  read_only
        .address_space:  global
        .offset:         32
        .size:           8
        .value_kind:     global_buffer
      - .offset:         40
        .size:           8
        .value_kind:     by_value
      - .actual_access:  read_only
        .address_space:  global
        .offset:         48
        .size:           8
        .value_kind:     global_buffer
      - .actual_access:  read_only
        .address_space:  global
        .offset:         56
        .size:           8
        .value_kind:     global_buffer
      - .offset:         64
        .size:           4
        .value_kind:     by_value
      - .actual_access:  read_only
        .address_space:  global
        .offset:         72
        .size:           8
        .value_kind:     global_buffer
      - .actual_access:  read_only
        .address_space:  global
        .offset:         80
        .size:           8
        .value_kind:     global_buffer
      - .actual_access:  read_only
        .address_space:  global
        .offset:         88
        .size:           8
        .value_kind:     global_buffer
      - .actual_access:  write_only
        .address_space:  global
        .offset:         96
        .size:           8
        .value_kind:     global_buffer
    .group_segment_fixed_size: 0
    .kernarg_segment_align: 8
    .kernarg_segment_size: 104
    .language:       OpenCL C
    .language_version:
      - 2
      - 0
    .max_flat_workgroup_size: 126
    .name:           fft_rtc_fwd_len378_factors_6_3_3_7_wgs_126_tpt_126_dp_op_CI_CI_unitstride_sbrr_dirReg
    .private_segment_fixed_size: 0
    .sgpr_count:     32
    .sgpr_spill_count: 0
    .symbol:         fft_rtc_fwd_len378_factors_6_3_3_7_wgs_126_tpt_126_dp_op_CI_CI_unitstride_sbrr_dirReg.kd
    .uniform_work_group_size: 1
    .uses_dynamic_stack: false
    .vgpr_count:     48
    .vgpr_spill_count: 0
    .wavefront_size: 64
amdhsa.target:   amdgcn-amd-amdhsa--gfx906
amdhsa.version:
  - 1
  - 2
...

	.end_amdgpu_metadata
